;; amdgpu-corpus repo=ROCm/rocFFT kind=compiled arch=gfx1030 opt=O3
	.text
	.amdgcn_target "amdgcn-amd-amdhsa--gfx1030"
	.amdhsa_code_object_version 6
	.protected	fft_rtc_back_len169_factors_13_13_wgs_156_tpt_13_dp_op_CI_CI_sbrc_z_xy_unaligned_dirReg ; -- Begin function fft_rtc_back_len169_factors_13_13_wgs_156_tpt_13_dp_op_CI_CI_sbrc_z_xy_unaligned_dirReg
	.globl	fft_rtc_back_len169_factors_13_13_wgs_156_tpt_13_dp_op_CI_CI_sbrc_z_xy_unaligned_dirReg
	.p2align	8
	.type	fft_rtc_back_len169_factors_13_13_wgs_156_tpt_13_dp_op_CI_CI_sbrc_z_xy_unaligned_dirReg,@function
fft_rtc_back_len169_factors_13_13_wgs_156_tpt_13_dp_op_CI_CI_sbrc_z_xy_unaligned_dirReg: ; @fft_rtc_back_len169_factors_13_13_wgs_156_tpt_13_dp_op_CI_CI_sbrc_z_xy_unaligned_dirReg
; %bb.0:
	s_load_dwordx8 s[8:15], s[4:5], 0x8
	s_waitcnt lgkmcnt(0)
	s_load_dwordx4 s[16:19], s[10:11], 0x8
	s_load_dwordx4 s[20:23], s[12:13], 0x0
	s_waitcnt lgkmcnt(0)
	s_add_i32 s0, s16, -1
	s_mul_hi_u32 s0, s0, 0xaaaaaaab
	s_lshr_b32 s0, s0, 3
	s_add_i32 s1, s0, 1
	s_mul_i32 s2, s1, s18
	v_cvt_f32_u32_e32 v2, s1
	v_cvt_f32_u32_e32 v1, s2
	s_sub_i32 s7, 0, s2
	v_rcp_iflag_f32_e32 v2, v2
	v_rcp_iflag_f32_e32 v1, v1
	v_mul_f32_e32 v1, 0x4f7ffffe, v1
	v_cvt_u32_f32_e32 v1, v1
	v_readfirstlane_b32 s3, v1
	v_mul_f32_e32 v1, 0x4f7ffffe, v2
	s_mul_i32 s7, s7, s3
	v_cvt_u32_f32_e32 v1, v1
	s_mul_hi_u32 s7, s3, s7
	s_add_i32 s3, s3, s7
	v_readfirstlane_b32 s17, v1
	s_mul_hi_u32 s3, s6, s3
	s_mul_i32 s7, s3, s2
	s_add_i32 s10, s3, 1
	s_sub_i32 s7, s6, s7
	s_sub_i32 s11, s7, s2
	s_cmp_ge_u32 s7, s2
	s_cselect_b32 s3, s10, s3
	s_cselect_b32 s7, s11, s7
	s_add_i32 s10, s3, 1
	s_cmp_ge_u32 s7, s2
	s_load_dword s7, s[12:13], 0x10
	s_cselect_b32 s33, s10, s3
	s_not_b32 s0, s0
	s_mul_i32 s2, s33, s2
	s_mul_i32 s0, s0, s17
	s_sub_i32 s2, s6, s2
	s_mul_hi_u32 s0, s17, s0
	s_add_i32 s17, s17, s0
	s_mul_hi_u32 s0, s2, s17
	s_mul_hi_u32 s11, s6, s17
	s_mul_i32 s3, s0, s1
	s_mul_i32 s11, s11, s1
	s_sub_i32 s2, s2, s3
	s_add_i32 s3, s0, 1
	s_sub_i32 s10, s2, s1
	s_cmp_ge_u32 s2, s1
	s_cselect_b32 s0, s3, s0
	s_cselect_b32 s2, s10, s2
	s_add_i32 s3, s0, 1
	s_cmp_ge_u32 s2, s1
	s_cselect_b32 s50, s3, s0
	s_sub_i32 s0, s6, s11
	s_sub_i32 s2, s0, s1
	s_cmp_ge_u32 s0, s1
	s_cselect_b32 s0, s2, s0
	s_sub_i32 s2, s0, s1
	s_cmp_ge_u32 s0, s1
	s_cselect_b32 s51, s2, s0
	s_waitcnt lgkmcnt(0)
	s_mul_i32 s2, s50, s7
	s_mul_i32 s51, s51, 12
	s_lshl_b64 s[0:1], s[8:9], 3
	s_mul_i32 s3, s51, s22
	s_add_i32 s8, s3, s2
	s_add_u32 s2, s12, s0
	s_addc_u32 s3, s13, s1
	s_load_dwordx2 s[2:3], s[2:3], 0x0
	s_load_dwordx2 s[10:11], s[4:5], 0x58
	;; [unrolled: 1-line block ×3, first 2 shown]
	s_waitcnt lgkmcnt(0)
	s_mul_i32 s3, s3, s33
	s_mul_hi_u32 s7, s2, s33
	s_mul_i32 s2, s2, s33
	s_add_i32 s7, s7, s3
	s_add_u32 s12, s2, s8
	s_addc_u32 s13, s7, 0
	s_add_u32 s8, s14, s0
	s_addc_u32 s9, s15, s1
	s_clause 0x1
	s_load_dwordx4 s[0:3], s[14:15], 0x0
	s_load_dwordx2 s[8:9], s[8:9], 0x0
	s_waitcnt lgkmcnt(0)
	s_add_i32 s3, s51, 12
	s_mov_b32 s14, -1
	s_cmp_le_u32 s3, s16
	s_mov_b32 s3, 0
	s_cselect_b32 s7, -1, 0
	s_and_b32 vcc_lo, exec_lo, s7
	s_cbranch_vccnz .LBB0_4
; %bb.1:
	s_lshl_b64 s[14:15], s[12:13], 4
	v_mov_b32_e32 v2, 0
	v_mov_b32_e32 v3, 0xc1e5
	;; [unrolled: 1-line block ×3, first 2 shown]
	s_add_u32 s14, s10, s14
	s_addc_u32 s15, s11, s15
	s_inst_prefetch 0x1
	.p2align	6
.LBB0_2:                                ; =>This Inner Loop Header: Depth=1
	v_mul_u32_u24_sdwa v1, v4, v3 dst_sel:DWORD dst_unused:UNUSED_PAD src0_sel:WORD_0 src1_sel:DWORD
	v_lshrrev_b32_e32 v9, 23, v1
	v_mul_lo_u16 v1, 0xa9, v9
	v_sub_nc_u16 v10, v4, v1
	v_add_nc_u32_e32 v4, 0x9c, v4
	v_and_b32_e32 v7, 0xffff, v10
	v_mad_u64_u32 v[5:6], null, s20, v7, 0
	v_mov_b32_e32 v1, v6
	v_mad_u64_u32 v[6:7], null, s21, v7, v[1:2]
	v_mul_lo_u32 v1, s22, v9
	v_lshlrev_b64 v[5:6], 4, v[5:6]
	v_lshlrev_b64 v[7:8], 4, v[1:2]
	v_add_co_u32 v1, vcc_lo, s14, v5
	v_add_co_ci_u32_e32 v6, vcc_lo, s15, v6, vcc_lo
	v_add_co_u32 v5, vcc_lo, v1, v7
	v_add_co_ci_u32_e32 v6, vcc_lo, v6, v8, vcc_lo
	v_mad_u16 v1, v10, 12, v9
	v_cmp_lt_u32_e32 vcc_lo, 0x7eb, v4
	global_load_dwordx4 v[5:8], v[5:6], off
	v_and_b32_e32 v1, 0xffff, v1
	s_or_b32 s3, vcc_lo, s3
	v_lshl_add_u32 v1, v1, 4, 0
	s_waitcnt vmcnt(0)
	ds_write_b128 v1, v[5:8]
	s_andn2_b32 exec_lo, exec_lo, s3
	s_cbranch_execnz .LBB0_2
; %bb.3:
	s_inst_prefetch 0x2
	s_or_b32 exec_lo, exec_lo, s3
	s_mov_b32 s14, 0
.LBB0_4:
	s_and_b32 vcc_lo, exec_lo, s14
	s_cbranch_vccz .LBB0_6
; %bb.5:
	v_mov_b32_e32 v22, 0x184
	v_add_nc_u16 v1, v0, 0x9c
	v_add_nc_u16 v8, v0, 0x138
	;; [unrolled: 1-line block ×3, first 2 shown]
	s_lshl_b64 s[12:13], s[12:13], 4
	v_mul_u32_u24_sdwa v2, v0, v22 dst_sel:DWORD dst_unused:UNUSED_PAD src0_sel:WORD_0 src1_sel:DWORD
	v_mul_u32_u24_sdwa v4, v1, v22 dst_sel:DWORD dst_unused:UNUSED_PAD src0_sel:WORD_0 src1_sel:DWORD
	s_add_u32 s3, s10, s12
	v_mul_u32_u24_sdwa v16, v21, v22 dst_sel:DWORD dst_unused:UNUSED_PAD src0_sel:WORD_0 src1_sel:DWORD
	s_addc_u32 s10, s11, s13
	v_lshrrev_b32_e32 v3, 16, v2
	v_mul_u32_u24_sdwa v2, v8, v22 dst_sel:DWORD dst_unused:UNUSED_PAD src0_sel:WORD_0 src1_sel:DWORD
	v_lshrrev_b32_e32 v4, 16, v4
	v_lshrrev_b32_e32 v61, 16, v16
	v_add_nc_u16 v23, v0, 0x270
	v_mul_lo_u16 v6, 0xa9, v3
	v_lshrrev_b32_e32 v5, 16, v2
	v_mul_lo_u16 v7, 0xa9, v4
	v_mov_b32_e32 v2, 0
	v_mov_b32_e32 v33, 0xc1f
	v_sub_nc_u16 v6, v0, v6
	v_mul_lo_u16 v9, 0xa9, v5
	v_sub_nc_u16 v7, v1, v7
	v_mul_lo_u32 v1, s22, v3
	v_add_nc_u16 v27, v0, 0x444
	v_and_b32_e32 v15, 0xffff, v6
	v_sub_nc_u16 v8, v8, v9
	v_and_b32_e32 v18, 0xffff, v7
	v_add_nc_u16 v31, v0, 0x57c
	v_add_nc_u16 v30, v0, 0x4e0
	v_mad_u64_u32 v[9:10], null, s20, v15, 0
	v_and_b32_e32 v20, 0xffff, v8
	v_mad_u64_u32 v[11:12], null, s20, v18, 0
	v_add_nc_u16 v34, v0, 0x6b4
	v_mad_u64_u32 v[13:14], null, s20, v20, 0
	v_mad_u64_u32 v[15:16], null, s21, v15, v[10:11]
	v_lshlrev_b64 v[16:17], 4, v[1:2]
	v_mul_lo_u32 v1, s22, v4
	v_mov_b32_e32 v10, v14
	v_mad_u64_u32 v[18:19], null, s21, v18, v[12:13]
	v_mul_lo_u16 v14, 0xa9, v61
	v_mad_u64_u32 v[19:20], null, s21, v20, v[10:11]
	v_mov_b32_e32 v10, v15
	v_sub_nc_u16 v62, v21, v14
	v_mov_b32_e32 v12, v18
	v_lshlrev_b64 v[20:21], 4, v[1:2]
	v_lshlrev_b64 v[9:10], 4, v[9:10]
	v_mov_b32_e32 v14, v19
	v_lshlrev_b64 v[11:12], 4, v[11:12]
	v_add_nc_u16 v19, v0, 0x30c
	v_add_co_u32 v1, vcc_lo, s3, v9
	v_add_co_ci_u32_e32 v10, vcc_lo, s10, v10, vcc_lo
	v_add_co_u32 v11, vcc_lo, s3, v11
	v_add_co_ci_u32_e32 v12, vcc_lo, s10, v12, vcc_lo
	;; [unrolled: 2-line block ×3, first 2 shown]
	v_add_co_u32 v15, vcc_lo, v11, v20
	v_mul_u32_u24_sdwa v17, v23, v22 dst_sel:DWORD dst_unused:UNUSED_PAD src0_sel:WORD_0 src1_sel:DWORD
	v_add_co_ci_u32_e32 v16, vcc_lo, v12, v21, vcc_lo
	v_lshlrev_b64 v[11:12], 4, v[13:14]
	v_and_b32_e32 v13, 0xffff, v62
	v_lshrrev_b32_e32 v63, 16, v17
	v_mul_u32_u24_sdwa v14, v19, v33 dst_sel:DWORD dst_unused:UNUSED_PAD src0_sel:WORD_0 src1_sel:DWORD
	v_add_nc_u16 v20, v0, 0x3a8
	v_mul_lo_u32 v1, s22, v5
	v_mad_u64_u32 v[17:18], null, s20, v13, 0
	v_mul_lo_u16 v21, 0xa9, v63
	v_lshrrev_b32_e32 v64, 19, v14
	v_mul_u32_u24_sdwa v14, v20, v33 dst_sel:DWORD dst_unused:UNUSED_PAD src0_sel:WORD_0 src1_sel:DWORD
	v_add_co_u32 v24, vcc_lo, s3, v11
	v_add_co_ci_u32_e32 v25, vcc_lo, s10, v12, vcc_lo
	v_lshlrev_b64 v[11:12], 4, v[1:2]
	v_mov_b32_e32 v1, v18
	v_sub_nc_u16 v65, v23, v21
	v_mul_lo_u16 v18, 0xa9, v64
	v_lshrrev_b32_e32 v66, 19, v14
	v_mad_u64_u32 v[13:14], null, s21, v13, v[1:2]
	v_and_b32_e32 v14, 0xffff, v65
	v_sub_nc_u16 v67, v19, v18
	v_mul_lo_u16 v1, 0xa9, v66
	v_add_co_u32 v19, vcc_lo, v24, v11
	v_mad_u64_u32 v[21:22], null, s20, v14, 0
	v_and_b32_e32 v28, 0xffff, v67
	v_sub_nc_u16 v68, v20, v1
	v_mul_u32_u24_sdwa v11, v27, v33 dst_sel:DWORD dst_unused:UNUSED_PAD src0_sel:WORD_0 src1_sel:DWORD
	v_add_co_ci_u32_e32 v20, vcc_lo, v25, v12, vcc_lo
	v_mad_u64_u32 v[23:24], null, s20, v28, 0
	v_and_b32_e32 v29, 0xffff, v68
	v_mov_b32_e32 v1, v22
	v_lshrrev_b32_e32 v69, 19, v11
	v_mul_u32_u24_sdwa v22, v30, v33 dst_sel:DWORD dst_unused:UNUSED_PAD src0_sel:WORD_0 src1_sel:DWORD
	v_mov_b32_e32 v18, v13
	v_mad_u64_u32 v[25:26], null, s20, v29, 0
	v_mad_u64_u32 v[11:12], null, s21, v14, v[1:2]
	v_mov_b32_e32 v1, v24
	v_mul_lo_u16 v14, 0xa9, v69
	v_mul_u32_u24_sdwa v24, v31, v33 dst_sel:DWORD dst_unused:UNUSED_PAD src0_sel:WORD_0 src1_sel:DWORD
	v_lshrrev_b32_e32 v71, 19, v22
	v_mad_u64_u32 v[12:13], null, s21, v28, v[1:2]
	v_mov_b32_e32 v1, v26
	v_sub_nc_u16 v70, v27, v14
	v_lshrrev_b32_e32 v72, 19, v24
	v_mov_b32_e32 v22, v11
	v_add_nc_u16 v11, v0, 0x618
	v_mad_u64_u32 v[13:14], null, s21, v29, v[1:2]
	v_and_b32_e32 v14, 0xffff, v70
	v_mul_lo_u16 v26, 0xa9, v72
	v_mul_lo_u16 v1, 0xa9, v71
	v_mov_b32_e32 v24, v12
	v_mul_u32_u24_sdwa v12, v11, v33 dst_sel:DWORD dst_unused:UNUSED_PAD src0_sel:WORD_0 src1_sel:DWORD
	v_mad_u64_u32 v[27:28], null, s20, v14, 0
	v_sub_nc_u16 v74, v31, v26
	v_mul_u32_u24_sdwa v26, v34, v33 dst_sel:DWORD dst_unused:UNUSED_PAD src0_sel:WORD_0 src1_sel:DWORD
	v_sub_nc_u16 v73, v30, v1
	v_lshrrev_b32_e32 v75, 19, v12
	v_lshlrev_b64 v[21:22], 4, v[21:22]
	v_and_b32_e32 v39, 0xffff, v74
	v_lshrrev_b32_e32 v76, 19, v26
	v_mov_b32_e32 v1, v28
	v_and_b32_e32 v28, 0xffff, v73
	v_mul_lo_u16 v12, 0xa9, v75
	v_add_nc_u16 v26, v0, 0x750
	v_mul_lo_u16 v35, 0xa9, v76
	v_mad_u64_u32 v[31:32], null, s20, v39, 0
	v_mad_u64_u32 v[29:30], null, s20, v28, 0
	v_sub_nc_u16 v77, v11, v12
	v_mul_u32_u24_sdwa v33, v26, v33 dst_sel:DWORD dst_unused:UNUSED_PAD src0_sel:WORD_0 src1_sel:DWORD
	v_sub_nc_u16 v78, v34, v35
	v_mad_u64_u32 v[11:12], null, s21, v14, v[1:2]
	v_and_b32_e32 v14, 0xffff, v77
	v_lshrrev_b32_e32 v79, 19, v33
	v_mov_b32_e32 v1, v30
	v_and_b32_e32 v30, 0xffff, v78
	v_mov_b32_e32 v12, v32
	v_mad_u64_u32 v[33:34], null, s20, v14, 0
	v_mul_lo_u16 v40, 0xa9, v79
	v_mad_u64_u32 v[35:36], null, s20, v30, 0
	v_mad_u64_u32 v[37:38], null, s21, v28, v[1:2]
	v_sub_nc_u16 v80, v26, v40
	v_mov_b32_e32 v1, v34
	v_mad_u64_u32 v[38:39], null, s21, v39, v[12:13]
	v_mov_b32_e32 v12, v36
	v_and_b32_e32 v43, 0xffff, v80
	v_mad_u64_u32 v[39:40], null, s21, v14, v[1:2]
	v_mul_lo_u32 v1, s22, v61
	v_mad_u64_u32 v[40:41], null, s21, v30, v[12:13]
	v_mad_u64_u32 v[41:42], null, s20, v43, 0
	v_mov_b32_e32 v32, v38
	v_mov_b32_e32 v34, v39
	v_lshlrev_b64 v[38:39], 4, v[17:18]
	v_mov_b32_e32 v30, v37
	v_mov_b32_e32 v36, v40
	v_lshlrev_b64 v[23:24], 4, v[23:24]
	v_mov_b32_e32 v37, v42
	v_mov_b32_e32 v26, v13
	;; [unrolled: 1-line block ×3, first 2 shown]
	v_lshlrev_b64 v[29:30], 4, v[29:30]
	v_lshlrev_b64 v[31:32], 4, v[31:32]
	v_mad_u64_u32 v[42:43], null, s21, v43, v[37:38]
	v_lshlrev_b64 v[43:44], 4, v[1:2]
	v_mul_lo_u32 v1, s22, v63
	v_add_co_u32 v37, vcc_lo, s3, v38
	v_add_co_ci_u32_e32 v38, vcc_lo, s10, v39, vcc_lo
	v_lshlrev_b64 v[25:26], 4, v[25:26]
	v_add_co_u32 v37, vcc_lo, v37, v43
	v_lshlrev_b64 v[39:40], 4, v[1:2]
	v_mul_lo_u32 v1, s22, v64
	v_add_co_ci_u32_e32 v38, vcc_lo, v38, v44, vcc_lo
	v_add_co_u32 v43, vcc_lo, s3, v21
	v_add_co_ci_u32_e32 v44, vcc_lo, s10, v22, vcc_lo
	v_add_co_u32 v45, vcc_lo, s3, v23
	v_lshlrev_b64 v[21:22], 4, v[1:2]
	v_mul_lo_u32 v1, s22, v66
	v_add_co_ci_u32_e32 v46, vcc_lo, s10, v24, vcc_lo
	v_add_co_u32 v39, vcc_lo, v43, v39
	v_add_co_ci_u32_e32 v40, vcc_lo, v44, v40, vcc_lo
	v_add_co_u32 v25, vcc_lo, s3, v25
	v_lshlrev_b64 v[23:24], 4, v[1:2]
	v_mul_lo_u32 v1, s22, v69
	v_lshlrev_b64 v[27:28], 4, v[27:28]
	v_add_co_ci_u32_e32 v26, vcc_lo, s10, v26, vcc_lo
	v_add_co_u32 v43, vcc_lo, v45, v21
	v_add_co_ci_u32_e32 v44, vcc_lo, v46, v22, vcc_lo
	v_lshlrev_b64 v[21:22], 4, v[1:2]
	v_mul_lo_u32 v1, s22, v71
	v_add_co_u32 v27, vcc_lo, s3, v27
	v_add_co_ci_u32_e32 v28, vcc_lo, s10, v28, vcc_lo
	v_add_co_u32 v45, vcc_lo, v25, v23
	v_add_co_ci_u32_e32 v46, vcc_lo, v26, v24, vcc_lo
	v_lshlrev_b64 v[23:24], 4, v[1:2]
	v_mul_lo_u32 v1, s22, v72
	v_add_co_u32 v25, vcc_lo, s3, v29
	v_add_co_ci_u32_e32 v26, vcc_lo, s10, v30, vcc_lo
	v_add_co_u32 v47, vcc_lo, v27, v21
	v_add_co_ci_u32_e32 v48, vcc_lo, v28, v22, vcc_lo
	v_lshlrev_b64 v[21:22], 4, v[1:2]
	v_mul_lo_u32 v1, s22, v75
	s_clause 0x1
	global_load_dwordx4 v[9:12], v[9:10], off
	global_load_dwordx4 v[13:16], v[15:16], off
	v_lshlrev_b64 v[33:34], 4, v[33:34]
	v_add_co_u32 v27, vcc_lo, s3, v31
	global_load_dwordx4 v[17:20], v[19:20], off
	v_add_co_ci_u32_e32 v28, vcc_lo, s10, v32, vcc_lo
	v_add_co_u32 v49, vcc_lo, v25, v23
	v_lshlrev_b64 v[51:52], 4, v[1:2]
	v_mul_lo_u32 v1, s22, v76
	v_add_co_ci_u32_e32 v50, vcc_lo, v26, v24, vcc_lo
	v_lshlrev_b64 v[35:36], 4, v[35:36]
	v_add_co_u32 v57, vcc_lo, s3, v33
	v_add_co_ci_u32_e32 v58, vcc_lo, s10, v34, vcc_lo
	v_add_co_u32 v53, vcc_lo, v27, v21
	v_add_co_ci_u32_e32 v54, vcc_lo, v28, v22, vcc_lo
	v_add_co_u32 v59, vcc_lo, s3, v35
	v_lshlrev_b64 v[55:56], 4, v[1:2]
	v_mul_lo_u32 v1, s22, v79
	v_lshlrev_b64 v[41:42], 4, v[41:42]
	v_add_co_ci_u32_e32 v60, vcc_lo, s10, v36, vcc_lo
	s_clause 0x4
	global_load_dwordx4 v[21:24], v[37:38], off
	global_load_dwordx4 v[25:28], v[39:40], off
	;; [unrolled: 1-line block ×5, first 2 shown]
	v_add_co_u32 v51, vcc_lo, v57, v51
	v_add_co_ci_u32_e32 v52, vcc_lo, v58, v52, vcc_lo
	v_add_co_u32 v41, vcc_lo, s3, v41
	v_lshlrev_b64 v[1:2], 4, v[1:2]
	v_add_co_ci_u32_e32 v42, vcc_lo, s10, v42, vcc_lo
	v_add_co_u32 v55, vcc_lo, v59, v55
	v_add_co_ci_u32_e32 v56, vcc_lo, v60, v56, vcc_lo
	v_add_co_u32 v1, vcc_lo, v41, v1
	v_add_co_ci_u32_e32 v2, vcc_lo, v42, v2, vcc_lo
	s_clause 0x4
	global_load_dwordx4 v[41:44], v[49:50], off
	global_load_dwordx4 v[45:48], v[53:54], off
	global_load_dwordx4 v[49:52], v[51:52], off
	global_load_dwordx4 v[53:56], v[55:56], off
	global_load_dwordx4 v[57:60], v[1:2], off
	v_mul_lo_u16 v1, v6, 12
	v_mul_lo_u16 v2, v7, 12
	v_or_b32_e32 v1, v1, v3
	v_or_b32_e32 v2, v2, v4
	v_mad_u16 v3, v8, 12, v5
	v_mad_u16 v4, v62, 12, v61
	v_mad_u16 v5, v70, 12, v69
	v_and_b32_e32 v1, 0xffff, v1
	v_and_b32_e32 v2, 0xffff, v2
	;; [unrolled: 1-line block ×5, first 2 shown]
	v_lshl_add_u32 v1, v1, 4, 0
	v_lshl_add_u32 v2, v2, 4, 0
	;; [unrolled: 1-line block ×5, first 2 shown]
	s_waitcnt vmcnt(12)
	ds_write_b128 v1, v[9:12]
	s_waitcnt vmcnt(11)
	ds_write_b128 v2, v[13:16]
	;; [unrolled: 2-line block ×3, first 2 shown]
	v_mad_u16 v1, v65, 12, v63
	v_mad_u16 v2, v67, 12, v64
	v_mad_u16 v3, v68, 12, v66
	v_and_b32_e32 v1, 0xffff, v1
	v_and_b32_e32 v2, 0xffff, v2
	;; [unrolled: 1-line block ×3, first 2 shown]
	v_lshl_add_u32 v1, v1, 4, 0
	v_lshl_add_u32 v2, v2, 4, 0
	;; [unrolled: 1-line block ×3, first 2 shown]
	s_waitcnt vmcnt(9)
	ds_write_b128 v4, v[21:24]
	s_waitcnt vmcnt(8)
	ds_write_b128 v1, v[25:28]
	;; [unrolled: 2-line block ×5, first 2 shown]
	v_mad_u16 v1, v73, 12, v71
	v_mad_u16 v2, v74, 12, v72
	;; [unrolled: 1-line block ×5, first 2 shown]
	v_and_b32_e32 v1, 0xffff, v1
	v_and_b32_e32 v2, 0xffff, v2
	;; [unrolled: 1-line block ×5, first 2 shown]
	v_lshl_add_u32 v1, v1, 4, 0
	v_lshl_add_u32 v2, v2, 4, 0
	;; [unrolled: 1-line block ×5, first 2 shown]
	s_waitcnt vmcnt(4)
	ds_write_b128 v1, v[41:44]
	s_waitcnt vmcnt(3)
	ds_write_b128 v2, v[45:48]
	;; [unrolled: 2-line block ×5, first 2 shown]
.LBB0_6:
	v_mov_b32_e32 v1, 0x1556
	v_mul_hi_u32 v63, 0x15555556, v0
	s_waitcnt lgkmcnt(0)
	s_barrier
	buffer_gl0_inv
	v_mul_u32_u24_sdwa v1, v0, v1 dst_sel:DWORD dst_unused:UNUSED_PAD src0_sel:WORD_0 src1_sel:DWORD
	s_mov_b32 s48, 0x4267c47c
	s_mov_b32 s10, 0xe00740e9
	;; [unrolled: 1-line block ×4, first 2 shown]
	v_lshrrev_b32_e32 v1, 16, v1
	s_mov_b32 s38, 0x42a4c3d2
	s_mov_b32 s42, 0x66966769
	;; [unrolled: 1-line block ×4, first 2 shown]
	v_mul_lo_u16 v1, v1, 12
	s_mov_b32 s34, 0x4bc48dbf
	s_mov_b32 s22, 0x1ea71119
	;; [unrolled: 1-line block ×4, first 2 shown]
	v_sub_nc_u16 v1, v0, v1
	s_mov_b32 s18, 0xd0032e0c
	s_mov_b32 s12, 0x93053d00
	;; [unrolled: 1-line block ×4, first 2 shown]
	v_and_b32_e32 v61, 0xffff, v1
	v_mul_u32_u24_e32 v1, 0xc0, v63
	s_mov_b32 s25, 0xbfedeba7
	s_mov_b32 s27, 0xbfe5384d
	;; [unrolled: 1-line block ×3, first 2 shown]
	v_lshlrev_b32_e32 v2, 4, v61
	s_mov_b32 s23, 0x3fe22d96
	s_mov_b32 s15, 0x3fbedb7d
	;; [unrolled: 1-line block ×4, first 2 shown]
	v_add3_u32 v62, 0, v1, v2
	s_mov_b32 s13, 0xbfef11f4
	s_mov_b32 s37, 0x3fddbe06
	;; [unrolled: 1-line block ×4, first 2 shown]
	ds_read_b128 v[1:4], v62
	ds_read_b128 v[5:8], v62 offset:2496
	ds_read_b128 v[9:12], v62 offset:4992
	;; [unrolled: 1-line block ×3, first 2 shown]
	s_mov_b32 s29, 0x3fefc445
	s_mov_b32 s30, s38
	;; [unrolled: 1-line block ×10, first 2 shown]
	ds_read_b128 v[21:24], v62 offset:12480
	s_waitcnt lgkmcnt(3)
	v_add_f64 v[17:18], v[1:2], v[5:6]
	v_add_f64 v[19:20], v[3:4], v[7:8]
	s_waitcnt lgkmcnt(2)
	v_add_f64 v[17:18], v[17:18], v[9:10]
	v_add_f64 v[19:20], v[19:20], v[11:12]
	;; [unrolled: 3-line block ×3, first 2 shown]
	ds_read_b128 v[17:20], v62 offset:9984
	ds_read_b128 v[64:67], v62 offset:19968
	;; [unrolled: 1-line block ×8, first 2 shown]
	s_waitcnt lgkmcnt(0)
	s_barrier
	buffer_gl0_inv
	v_add_f64 v[31:32], v[23:24], v[66:67]
	v_add_f64 v[25:26], v[25:26], v[17:18]
	;; [unrolled: 1-line block ×3, first 2 shown]
	v_add_f64 v[33:34], v[23:24], -v[66:67]
	v_add_f64 v[53:54], v[7:8], -v[74:75]
	v_add_f64 v[55:56], v[7:8], v[74:75]
	v_add_f64 v[7:8], v[39:40], -v[45:46]
	v_add_f64 v[84:85], v[11:12], -v[82:83]
	v_add_f64 v[86:87], v[11:12], v[82:83]
	;; [unrolled: 3-line block ×3, first 2 shown]
	v_add_f64 v[37:38], v[19:20], -v[70:71]
	v_add_f64 v[19:20], v[21:22], v[64:65]
	v_add_f64 v[88:89], v[5:6], v[72:73]
	v_add_f64 v[90:91], v[5:6], -v[72:73]
	v_add_f64 v[57:58], v[15:16], v[78:79]
	v_add_f64 v[59:60], v[15:16], -v[78:79]
	v_mul_f64 v[15:16], v[31:32], s[18:19]
	v_add_f64 v[29:30], v[25:26], v[21:22]
	v_add_f64 v[27:28], v[27:28], v[23:24]
	;; [unrolled: 1-line block ×4, first 2 shown]
	v_add_f64 v[21:22], v[21:22], -v[64:65]
	v_mul_f64 v[92:93], v[53:54], s[48:49]
	v_mul_f64 v[104:105], v[55:56], s[10:11]
	;; [unrolled: 1-line block ×17, first 2 shown]
	v_add_f64 v[49:50], v[29:30], v[39:40]
	v_add_f64 v[51:52], v[27:28], v[41:42]
	v_add_f64 v[29:30], v[17:18], -v[68:69]
	v_add_f64 v[17:18], v[39:40], v[45:46]
	v_add_f64 v[27:28], v[41:42], -v[47:48]
	v_add_f64 v[39:40], v[13:14], v[76:77]
	v_add_f64 v[41:42], v[9:10], v[80:81]
	v_fma_f64 v[164:165], v[88:89], s[10:11], v[92:93]
	v_fma_f64 v[170:171], v[90:91], s[36:37], v[104:105]
	v_fma_f64 v[92:93], v[88:89], s[10:11], -v[92:93]
	v_fma_f64 v[166:167], v[88:89], s[22:23], v[94:95]
	v_fma_f64 v[94:95], v[88:89], s[22:23], -v[94:95]
	;; [unrolled: 2-line block ×4, first 2 shown]
	v_fma_f64 v[174:175], v[90:91], s[30:31], v[106:107]
	v_mul_f64 v[120:121], v[59:60], s[34:35]
	v_fma_f64 v[182:183], v[43:44], s[30:31], v[55:56]
	v_mul_f64 v[122:123], v[57:58], s[12:13]
	v_mul_f64 v[136:137], v[84:85], s[34:35]
	v_fma_f64 v[104:105], v[90:91], s[48:49], v[104:105]
	v_add_f64 v[9:10], v[49:50], v[45:46]
	v_add_f64 v[13:14], v[51:52], v[47:48]
	v_mul_f64 v[49:50], v[59:60], s[42:43]
	v_mul_f64 v[51:52], v[57:58], s[14:15]
	;; [unrolled: 1-line block ×4, first 2 shown]
	v_fma_f64 v[180:181], v[41:42], s[22:23], v[53:54]
	v_add_f64 v[164:165], v[1:2], v[164:165]
	v_add_f64 v[170:171], v[3:4], v[170:171]
	v_fma_f64 v[176:177], v[90:91], s[46:47], v[110:111]
	v_fma_f64 v[110:111], v[90:91], s[24:25], v[110:111]
	;; [unrolled: 1-line block ×6, first 2 shown]
	v_add_f64 v[166:167], v[1:2], v[166:167]
	v_add_f64 v[174:175], v[3:4], v[174:175]
	;; [unrolled: 1-line block ×3, first 2 shown]
	v_mul_f64 v[124:125], v[37:38], s[44:45]
	v_mul_f64 v[126:127], v[35:36], s[18:19]
	;; [unrolled: 1-line block ×4, first 2 shown]
	v_add_f64 v[64:65], v[9:10], v[64:65]
	v_add_f64 v[66:67], v[13:14], v[66:67]
	v_mul_f64 v[13:14], v[33:34], s[26:27]
	v_mul_f64 v[152:153], v[84:85], s[44:45]
	;; [unrolled: 1-line block ×3, first 2 shown]
	v_add_f64 v[168:169], v[1:2], v[168:169]
	v_add_f64 v[96:97], v[1:2], v[96:97]
	;; [unrolled: 1-line block ×3, first 2 shown]
	v_fma_f64 v[180:181], v[39:40], s[14:15], v[49:50]
	v_add_f64 v[170:171], v[182:183], v[170:171]
	v_fma_f64 v[182:183], v[11:12], s[28:29], v[51:52]
	v_mul_f64 v[5:6], v[27:28], s[34:35]
	v_mul_f64 v[9:10], v[23:24], s[12:13]
	;; [unrolled: 1-line block ×4, first 2 shown]
	v_add_f64 v[166:167], v[184:185], v[166:167]
	v_add_f64 v[174:175], v[186:187], v[174:175]
	v_mul_f64 v[144:145], v[37:38], s[36:37]
	v_mul_f64 v[146:147], v[35:36], s[10:11]
	;; [unrolled: 1-line block ×3, first 2 shown]
	v_add_f64 v[172:173], v[1:2], v[172:173]
	v_add_f64 v[176:177], v[3:4], v[176:177]
	;; [unrolled: 1-line block ×4, first 2 shown]
	v_mul_f64 v[68:69], v[33:34], s[38:39]
	v_fma_f64 v[184:185], v[41:42], s[18:19], v[152:153]
	v_fma_f64 v[186:187], v[43:44], s[26:27], v[154:155]
	v_mul_f64 v[70:71], v[31:32], s[22:23]
	v_mul_f64 v[156:157], v[59:60], s[36:37]
	;; [unrolled: 1-line block ×3, first 2 shown]
	v_add_f64 v[164:165], v[180:181], v[164:165]
	v_fma_f64 v[180:181], v[29:30], s[46:47], v[47:48]
	v_add_f64 v[170:171], v[182:183], v[170:171]
	v_fma_f64 v[182:183], v[11:12], s[24:25], v[142:143]
	v_fma_f64 v[142:143], v[11:12], s[46:47], v[142:143]
	v_fma_f64 v[152:153], v[41:42], s[18:19], -v[152:153]
	v_add_f64 v[98:99], v[1:2], v[98:99]
	v_fma_f64 v[154:155], v[43:44], s[44:45], v[154:155]
	v_add_f64 v[110:111], v[3:4], v[110:111]
	v_mul_f64 v[160:161], v[37:38], s[42:43]
	v_add_f64 v[92:93], v[1:2], v[92:93]
	v_add_f64 v[104:105], v[3:4], v[104:105]
	v_add_f64 v[178:179], v[3:4], v[178:179]
	v_add_f64 v[112:113], v[3:4], v[112:113]
	v_add_f64 v[64:65], v[64:65], v[76:77]
	v_add_f64 v[66:67], v[66:67], v[78:79]
	v_fma_f64 v[76:77], v[88:89], s[18:19], v[100:101]
	v_fma_f64 v[78:79], v[88:89], s[18:19], -v[100:101]
	v_fma_f64 v[100:101], v[88:89], s[12:13], v[102:103]
	v_fma_f64 v[88:89], v[88:89], s[12:13], -v[102:103]
	v_fma_f64 v[102:103], v[90:91], s[38:39], v[106:107]
	v_fma_f64 v[106:107], v[90:91], s[28:29], v[108:109]
	;; [unrolled: 1-line block ×3, first 2 shown]
	v_add_f64 v[172:173], v[184:185], v[172:173]
	v_add_f64 v[170:171], v[180:181], v[170:171]
	v_mul_f64 v[184:185], v[84:85], s[28:29]
	v_add_f64 v[176:177], v[186:187], v[176:177]
	v_mul_f64 v[186:187], v[86:87], s[14:15]
	v_fma_f64 v[180:181], v[19:20], s[14:15], v[128:129]
	v_fma_f64 v[128:129], v[19:20], s[14:15], -v[128:129]
	v_fma_f64 v[190:191], v[29:30], s[28:29], v[162:163]
	v_add_f64 v[98:99], v[152:153], v[98:99]
	v_mul_f64 v[84:85], v[84:85], s[36:37]
	v_mul_f64 v[86:87], v[86:87], s[10:11]
	v_fma_f64 v[188:189], v[25:26], s[14:15], v[160:161]
	v_mul_f64 v[132:133], v[27:28], s[36:37]
	v_add_f64 v[64:65], v[64:65], v[80:81]
	v_add_f64 v[66:67], v[66:67], v[82:83]
	v_fma_f64 v[80:81], v[90:91], s[40:41], v[114:115]
	v_fma_f64 v[82:83], v[41:42], s[20:21], -v[116:117]
	v_fma_f64 v[116:117], v[43:44], s[24:25], v[118:119]
	v_fma_f64 v[90:91], v[90:91], s[34:35], v[114:115]
	v_add_f64 v[102:103], v[3:4], v[102:103]
	v_fma_f64 v[114:115], v[43:44], s[40:41], v[138:139]
	v_fma_f64 v[138:139], v[43:44], s[34:35], v[138:139]
	v_add_f64 v[108:109], v[3:4], v[108:109]
	v_fma_f64 v[118:119], v[41:42], s[12:13], v[136:137]
	v_add_f64 v[106:107], v[3:4], v[106:107]
	v_fma_f64 v[136:137], v[41:42], s[12:13], -v[136:137]
	v_add_f64 v[76:77], v[1:2], v[76:77]
	v_add_f64 v[78:79], v[1:2], v[78:79]
	;; [unrolled: 1-line block ×4, first 2 shown]
	v_mul_f64 v[134:135], v[23:24], s[10:11]
	v_mul_f64 v[148:149], v[27:28], s[26:27]
	;; [unrolled: 1-line block ×3, first 2 shown]
	v_add_f64 v[64:65], v[64:65], v[72:73]
	v_add_f64 v[66:67], v[66:67], v[74:75]
	v_add_f64 v[80:81], v[3:4], v[80:81]
	v_add_f64 v[82:83], v[82:83], v[94:95]
	v_fma_f64 v[94:95], v[39:40], s[12:13], v[120:121]
	v_fma_f64 v[120:121], v[39:40], s[12:13], -v[120:121]
	v_add_f64 v[102:103], v[116:117], v[102:103]
	v_fma_f64 v[116:117], v[11:12], s[40:41], v[122:123]
	v_fma_f64 v[122:123], v[11:12], s[34:35], v[122:123]
	v_add_f64 v[108:109], v[138:139], v[108:109]
	v_fma_f64 v[138:139], v[25:26], s[20:21], v[45:46]
	v_add_f64 v[118:119], v[118:119], v[168:169]
	v_add_f64 v[106:107], v[114:115], v[106:107]
	;; [unrolled: 1-line block ×3, first 2 shown]
	v_fma_f64 v[136:137], v[39:40], s[20:21], v[140:141]
	v_fma_f64 v[140:141], v[39:40], s[20:21], -v[140:141]
	v_add_f64 v[90:91], v[3:4], v[90:91]
	v_add_f64 v[72:73], v[154:155], v[110:111]
	v_fma_f64 v[74:75], v[39:40], s[10:11], -v[156:157]
	v_fma_f64 v[110:111], v[11:12], s[36:37], v[158:159]
	v_fma_f64 v[154:155], v[41:42], s[10:11], v[84:85]
	v_fma_f64 v[84:85], v[41:42], s[10:11], -v[84:85]
	v_mul_f64 v[168:169], v[33:34], s[40:41]
	v_mul_f64 v[114:115], v[31:32], s[12:13]
	v_add_f64 v[94:95], v[94:95], v[166:167]
	v_fma_f64 v[166:167], v[25:26], s[18:19], v[124:125]
	v_add_f64 v[82:83], v[120:121], v[82:83]
	v_add_f64 v[116:117], v[116:117], v[174:175]
	v_fma_f64 v[174:175], v[29:30], s[26:27], v[126:127]
	v_fma_f64 v[120:121], v[19:20], s[18:19], v[13:14]
	v_fma_f64 v[124:125], v[25:26], s[18:19], -v[124:125]
	v_fma_f64 v[126:127], v[29:30], s[44:45], v[126:127]
	v_add_f64 v[102:103], v[122:123], v[102:103]
	v_fma_f64 v[122:123], v[21:22], s[44:45], v[15:16]
	v_add_f64 v[138:139], v[138:139], v[164:165]
	v_add_f64 v[118:119], v[136:137], v[118:119]
	v_fma_f64 v[136:137], v[17:18], s[12:13], v[5:6]
	v_fma_f64 v[164:165], v[7:8], s[40:41], v[9:10]
	v_add_f64 v[106:107], v[182:183], v[106:107]
	v_fma_f64 v[182:183], v[21:22], s[42:43], v[130:131]
	v_add_f64 v[96:97], v[140:141], v[96:97]
	v_add_f64 v[108:109], v[142:143], v[108:109]
	v_fma_f64 v[130:131], v[21:22], s[28:29], v[130:131]
	v_add_f64 v[74:75], v[74:75], v[98:99]
	;; [unrolled: 3-line block ×3, first 2 shown]
	v_add_f64 v[94:95], v[166:167], v[94:95]
	v_fma_f64 v[166:167], v[25:26], s[10:11], v[144:145]
	v_fma_f64 v[144:145], v[25:26], s[10:11], -v[144:145]
	v_add_f64 v[116:117], v[174:175], v[116:117]
	v_fma_f64 v[174:175], v[29:30], s[48:49], v[146:147]
	v_add_f64 v[82:83], v[124:125], v[82:83]
	v_fma_f64 v[146:147], v[29:30], s[36:37], v[146:147]
	v_add_f64 v[102:103], v[126:127], v[102:103]
	v_add_f64 v[122:123], v[122:123], v[170:171]
	;; [unrolled: 1-line block ×3, first 2 shown]
	v_fma_f64 v[170:171], v[11:12], s[48:49], v[158:159]
	v_fma_f64 v[124:125], v[19:20], s[22:23], v[68:69]
	;; [unrolled: 1-line block ×3, first 2 shown]
	v_fma_f64 v[68:69], v[19:20], s[22:23], -v[68:69]
	v_fma_f64 v[70:71], v[21:22], s[38:39], v[70:71]
	v_fma_f64 v[138:139], v[39:40], s[10:11], v[156:157]
	v_fma_f64 v[156:157], v[43:44], s[48:49], v[86:87]
	v_fma_f64 v[86:87], v[43:44], s[36:37], v[86:87]
	v_mul_f64 v[158:159], v[37:38], s[40:41]
	v_mul_f64 v[37:38], v[37:38], s[30:31]
	v_add_f64 v[84:85], v[84:85], v[88:89]
	v_fma_f64 v[13:14], v[19:20], s[18:19], -v[13:14]
	v_fma_f64 v[15:16], v[21:22], s[26:27], v[15:16]
	v_add_f64 v[118:119], v[166:167], v[118:119]
	v_add_f64 v[96:97], v[144:145], v[96:97]
	v_fma_f64 v[140:141], v[17:18], s[10:11], v[132:133]
	v_add_f64 v[106:107], v[174:175], v[106:107]
	v_add_f64 v[82:83], v[128:129], v[82:83]
	;; [unrolled: 1-line block ×7, first 2 shown]
	v_fma_f64 v[120:121], v[41:42], s[14:15], v[184:185]
	v_fma_f64 v[122:123], v[43:44], s[42:43], v[186:187]
	v_mul_f64 v[128:129], v[59:60], s[38:39]
	v_mul_f64 v[130:131], v[57:58], s[22:23]
	;; [unrolled: 1-line block ×4, first 2 shown]
	v_add_f64 v[138:139], v[138:139], v[172:173]
	v_add_f64 v[80:81], v[156:157], v[80:81]
	;; [unrolled: 1-line block ×3, first 2 shown]
	v_fma_f64 v[136:137], v[19:20], s[12:13], v[168:169]
	v_fma_f64 v[88:89], v[25:26], s[12:13], v[158:159]
	;; [unrolled: 1-line block ×3, first 2 shown]
	v_add_f64 v[118:119], v[124:125], v[118:119]
	v_add_f64 v[68:69], v[68:69], v[96:97]
	v_fma_f64 v[96:97], v[25:26], s[14:15], -v[160:161]
	v_add_f64 v[106:107], v[126:127], v[106:107]
	v_mul_f64 v[160:161], v[35:36], s[12:13]
	v_add_f64 v[70:71], v[70:71], v[108:109]
	v_mul_f64 v[35:36], v[35:36], s[22:23]
	v_add_f64 v[94:95], v[180:181], v[94:95]
	v_add_f64 v[116:117], v[182:183], v[116:117]
	;; [unrolled: 1-line block ×5, first 2 shown]
	v_fma_f64 v[110:111], v[39:40], s[22:23], v[128:129]
	v_fma_f64 v[120:121], v[11:12], s[30:31], v[130:131]
	v_fma_f64 v[122:123], v[41:42], s[14:15], -v[184:185]
	v_fma_f64 v[152:153], v[43:44], s[28:29], v[186:187]
	v_fma_f64 v[41:42], v[41:42], s[22:23], -v[53:54]
	v_fma_f64 v[43:44], v[43:44], s[38:39], v[55:56]
	v_add_f64 v[55:56], v[98:99], v[72:73]
	v_fma_f64 v[98:99], v[11:12], s[38:39], v[130:131]
	v_add_f64 v[124:125], v[188:189], v[138:139]
	v_fma_f64 v[138:139], v[21:22], s[34:35], v[114:115]
	v_fma_f64 v[144:145], v[17:18], s[18:19], v[148:149]
	;; [unrolled: 1-line block ×3, first 2 shown]
	v_add_f64 v[53:54], v[96:97], v[74:75]
	v_fma_f64 v[96:97], v[39:40], s[22:23], -v[128:129]
	v_fma_f64 v[90:91], v[29:30], s[34:35], v[160:161]
	v_fma_f64 v[132:133], v[17:18], s[10:11], -v[132:133]
	v_fma_f64 v[134:135], v[7:8], s[36:37], v[134:135]
	v_fma_f64 v[148:149], v[17:18], s[18:19], -v[148:149]
	v_fma_f64 v[150:151], v[7:8], s[26:27], v[150:151]
	v_add_f64 v[72:73], v[110:111], v[76:77]
	v_add_f64 v[74:75], v[120:121], v[108:109]
	;; [unrolled: 1-line block ×4, first 2 shown]
	v_fma_f64 v[108:109], v[39:40], s[18:19], v[59:60]
	v_fma_f64 v[110:111], v[11:12], s[44:45], v[57:58]
	v_fma_f64 v[59:60], v[39:40], s[18:19], -v[59:60]
	v_fma_f64 v[57:58], v[11:12], s[26:27], v[57:58]
	v_add_f64 v[41:42], v[41:42], v[92:93]
	v_add_f64 v[43:44], v[43:44], v[104:105]
	v_fma_f64 v[39:40], v[39:40], s[14:15], -v[49:50]
	v_fma_f64 v[11:12], v[11:12], s[42:43], v[51:52]
	v_mul_f64 v[92:93], v[33:34], s[36:37]
	v_mul_f64 v[104:105], v[31:32], s[10:11]
	;; [unrolled: 1-line block ×4, first 2 shown]
	v_add_f64 v[124:125], v[136:137], v[124:125]
	v_add_f64 v[126:127], v[138:139], v[126:127]
	v_mul_f64 v[136:137], v[27:28], s[30:31]
	v_mul_f64 v[138:139], v[23:24], s[22:23]
	v_fma_f64 v[49:50], v[19:20], s[12:13], -v[168:169]
	v_fma_f64 v[51:52], v[21:22], s[40:41], v[114:115]
	v_add_f64 v[72:73], v[88:89], v[72:73]
	v_add_f64 v[74:75], v[90:91], v[74:75]
	;; [unrolled: 1-line block ×4, first 2 shown]
	v_fma_f64 v[96:97], v[25:26], s[12:13], -v[158:159]
	v_fma_f64 v[98:99], v[29:30], s[40:41], v[160:161]
	v_add_f64 v[100:101], v[108:109], v[100:101]
	v_add_f64 v[80:81], v[110:111], v[80:81]
	v_fma_f64 v[108:109], v[25:26], s[22:23], v[37:38]
	v_fma_f64 v[110:111], v[29:30], s[38:39], v[35:36]
	v_add_f64 v[59:60], v[59:60], v[84:85]
	v_add_f64 v[57:58], v[57:58], v[86:87]
	v_fma_f64 v[37:38], v[25:26], s[22:23], -v[37:38]
	v_fma_f64 v[35:36], v[29:30], s[30:31], v[35:36]
	v_add_f64 v[39:40], v[39:40], v[41:42]
	v_add_f64 v[11:12], v[11:12], v[43:44]
	v_fma_f64 v[25:26], v[25:26], s[20:21], -v[45:46]
	v_fma_f64 v[29:30], v[29:30], s[24:25], v[47:48]
	v_fma_f64 v[41:42], v[19:20], s[10:11], v[92:93]
	v_fma_f64 v[43:44], v[21:22], s[48:49], v[104:105]
	v_mul_f64 v[45:46], v[27:28], s[24:25]
	v_mul_f64 v[47:48], v[23:24], s[20:21]
	v_fma_f64 v[84:85], v[19:20], s[10:11], -v[92:93]
	v_fma_f64 v[86:87], v[21:22], s[36:37], v[104:105]
	v_fma_f64 v[90:91], v[19:20], s[20:21], v[33:34]
	;; [unrolled: 1-line block ×3, first 2 shown]
	v_add_f64 v[76:77], v[96:97], v[76:77]
	v_add_f64 v[78:79], v[98:99], v[78:79]
	v_mul_f64 v[27:28], v[27:28], s[28:29]
	v_mul_f64 v[23:24], v[23:24], s[14:15]
	v_add_f64 v[88:89], v[108:109], v[100:101]
	v_add_f64 v[80:81], v[110:111], v[80:81]
	v_fma_f64 v[33:34], v[19:20], s[20:21], -v[33:34]
	v_fma_f64 v[31:32], v[21:22], s[24:25], v[31:32]
	v_add_f64 v[37:38], v[37:38], v[59:60]
	v_add_f64 v[35:36], v[35:36], v[57:58]
	v_fma_f64 v[57:58], v[17:18], s[22:23], v[136:137]
	v_fma_f64 v[59:60], v[7:8], s[38:39], v[138:139]
	v_add_f64 v[25:26], v[25:26], v[39:40]
	v_add_f64 v[11:12], v[29:30], v[11:12]
	;; [unrolled: 1-line block ×4, first 2 shown]
	v_fma_f64 v[29:30], v[17:18], s[22:23], -v[136:137]
	v_add_f64 v[39:40], v[41:42], v[72:73]
	v_add_f64 v[41:42], v[43:44], v[74:75]
	v_fma_f64 v[43:44], v[17:18], s[20:21], v[45:46]
	v_fma_f64 v[51:52], v[7:8], s[46:47], v[47:48]
	v_fma_f64 v[45:46], v[17:18], s[20:21], -v[45:46]
	v_add_f64 v[53:54], v[84:85], v[76:77]
	v_add_f64 v[55:56], v[86:87], v[78:79]
	v_fma_f64 v[76:77], v[17:18], s[14:15], v[27:28]
	v_fma_f64 v[78:79], v[7:8], s[42:43], v[23:24]
	v_add_f64 v[72:73], v[90:91], v[88:89]
	v_add_f64 v[74:75], v[92:93], v[80:81]
	v_fma_f64 v[27:28], v[17:18], s[14:15], -v[27:28]
	v_fma_f64 v[84:85], v[7:8], s[28:29], v[23:24]
	v_add_f64 v[80:81], v[33:34], v[37:38]
	v_add_f64 v[35:36], v[31:32], v[35:36]
	v_fma_f64 v[47:48], v[7:8], s[24:25], v[47:48]
	v_fma_f64 v[92:93], v[17:18], s[12:13], -v[5:6]
	v_add_f64 v[88:89], v[13:14], v[25:26]
	v_add_f64 v[90:91], v[15:16], v[11:12]
	v_fma_f64 v[96:97], v[7:8], s[34:35], v[9:10]
	v_fma_f64 v[86:87], v[7:8], s[30:31], v[138:139]
	v_add_f64 v[5:6], v[140:141], v[94:95]
	v_add_f64 v[7:8], v[142:143], v[116:117]
	;; [unrolled: 1-line block ×22, first 2 shown]
	v_mad_u32_u24 v49, 0x900, v63, v62
	ds_write_b128 v49, v[64:67]
	ds_write_b128 v49, v[1:4] offset:192
	ds_write_b128 v49, v[5:8] offset:384
	ds_write_b128 v49, v[13:16] offset:576
	ds_write_b128 v49, v[21:24] offset:768
	ds_write_b128 v49, v[29:32] offset:960
	ds_write_b128 v49, v[37:40] offset:1152
	v_add_nc_u32_e32 v1, s51, v61
	ds_write_b128 v49, v[41:44] offset:1344
	ds_write_b128 v49, v[33:36] offset:1536
	;; [unrolled: 1-line block ×4, first 2 shown]
	v_cmp_gt_u32_e32 vcc_lo, s16, v1
	ds_write_b128 v49, v[9:12] offset:2112
	ds_write_b128 v49, v[45:48] offset:2304
	s_waitcnt lgkmcnt(0)
	s_barrier
	buffer_gl0_inv
	s_or_b32 s7, s7, vcc_lo
	s_and_saveexec_b32 s16, s7
	s_cbranch_execz .LBB0_8
; %bb.7:
	v_mul_hi_u32 v1, 0x13b13b14, v63
	s_clause 0x1
	s_load_dwordx2 s[16:17], s[4:5], 0x0
	s_load_dwordx2 s[4:5], s[4:5], 0x60
	v_mul_hi_u32 v0, 0x1a41a42, v0
	s_mul_hi_u32 s7, s0, s51
	s_mul_i32 s9, s9, s33
	s_mul_i32 s2, s50, s2
	v_mul_u32_u24_e32 v1, 13, v1
	v_sub_nc_u32_e32 v5, v63, v1
	v_mul_u32_u24_e32 v1, 12, v5
	v_mad_u32_u24 v0, 0xa9, v0, v5
	v_lshlrev_b32_e32 v1, 4, v1
	s_waitcnt lgkmcnt(0)
	s_clause 0x4
	global_load_dwordx4 v[6:9], v1, s[16:17] offset:80
	global_load_dwordx4 v[10:13], v1, s[16:17] offset:96
	;; [unrolled: 1-line block ×5, first 2 shown]
	ds_read_b128 v[26:29], v62 offset:14976
	ds_read_b128 v[30:33], v62 offset:17472
	s_waitcnt vmcnt(4) lgkmcnt(1)
	v_mul_f64 v[2:3], v[28:29], v[8:9]
	v_mul_f64 v[8:9], v[26:27], v[8:9]
	s_waitcnt vmcnt(3) lgkmcnt(0)
	v_mul_f64 v[34:35], v[32:33], v[12:13]
	v_mul_f64 v[12:13], v[30:31], v[12:13]
	v_fma_f64 v[36:37], v[26:27], v[6:7], v[2:3]
	v_fma_f64 v[38:39], v[28:29], v[6:7], -v[8:9]
	ds_read_b128 v[6:9], v62 offset:12480
	ds_read_b128 v[26:29], v62 offset:9984
	v_fma_f64 v[30:31], v[30:31], v[10:11], v[34:35]
	v_fma_f64 v[32:33], v[32:33], v[10:11], -v[12:13]
	ds_read_b128 v[10:13], v62 offset:19968
	s_waitcnt vmcnt(2) lgkmcnt(2)
	v_mul_f64 v[2:3], v[8:9], v[16:17]
	v_mul_f64 v[16:17], v[6:7], v[16:17]
	v_fma_f64 v[34:35], v[6:7], v[14:15], v[2:3]
	v_fma_f64 v[40:41], v[8:9], v[14:15], -v[16:17]
	ds_read_b128 v[6:9], v62 offset:22464
	s_waitcnt vmcnt(1) lgkmcnt(1)
	v_mul_f64 v[14:15], v[10:11], v[20:21]
	v_mul_f64 v[2:3], v[12:13], v[20:21]
	v_fma_f64 v[44:45], v[12:13], v[18:19], -v[14:15]
	s_waitcnt vmcnt(0)
	v_mul_f64 v[14:15], v[26:27], v[24:25]
	v_fma_f64 v[42:43], v[10:11], v[18:19], v[2:3]
	global_load_dwordx4 v[10:13], v1, s[16:17] offset:32
	v_mul_f64 v[2:3], v[28:29], v[24:25]
	v_fma_f64 v[48:49], v[28:29], v[22:23], -v[14:15]
	s_clause 0x1
	global_load_dwordx4 v[14:17], v1, s[16:17] offset:128
	global_load_dwordx4 v[18:21], v1, s[16:17] offset:144
	v_mul_lo_u32 v28, v0, s6
	v_fma_f64 v[46:47], v[26:27], v[22:23], v[2:3]
	v_mov_b32_e32 v29, 0
	v_add_f64 v[24:25], v[34:35], v[42:43]
	v_add_f64 v[26:27], v[40:41], v[44:45]
	;; [unrolled: 1-line block ×3, first 2 shown]
	s_waitcnt vmcnt(1) lgkmcnt(0)
	v_mul_f64 v[2:3], v[8:9], v[16:17]
	v_fma_f64 v[50:51], v[6:7], v[14:15], v[2:3]
	v_mul_f64 v[2:3], v[6:7], v[16:17]
	v_fma_f64 v[52:53], v[8:9], v[14:15], -v[2:3]
	ds_read_b128 v[6:9], v62 offset:7488
	ds_read_b128 v[14:17], v62 offset:4992
	s_waitcnt lgkmcnt(1)
	v_mul_f64 v[2:3], v[8:9], v[12:13]
	v_fma_f64 v[54:55], v[6:7], v[10:11], v[2:3]
	v_mul_f64 v[2:3], v[6:7], v[12:13]
	v_fma_f64 v[56:57], v[8:9], v[10:11], -v[2:3]
	ds_read_b128 v[6:9], v62 offset:24960
	ds_read_b128 v[10:13], v62 offset:27456
	s_waitcnt vmcnt(0) lgkmcnt(1)
	v_mul_f64 v[2:3], v[8:9], v[20:21]
	v_fma_f64 v[58:59], v[6:7], v[18:19], v[2:3]
	v_mul_f64 v[2:3], v[6:7], v[20:21]
	v_fma_f64 v[63:64], v[8:9], v[18:19], -v[2:3]
	s_clause 0x1
	global_load_dwordx4 v[6:9], v1, s[16:17] offset:16
	global_load_dwordx4 v[18:21], v1, s[16:17]
	v_add_f64 v[82:83], v[56:57], -v[63:64]
	s_waitcnt vmcnt(1)
	v_mul_f64 v[2:3], v[16:17], v[8:9]
	v_fma_f64 v[65:66], v[14:15], v[6:7], v[2:3]
	v_mul_f64 v[2:3], v[14:15], v[8:9]
	v_fma_f64 v[67:68], v[16:17], v[6:7], -v[2:3]
	s_clause 0x1
	global_load_dwordx4 v[6:9], v1, s[16:17] offset:160
	global_load_dwordx4 v[14:17], v1, s[16:17] offset:176
	s_waitcnt vmcnt(1) lgkmcnt(0)
	v_mul_f64 v[1:2], v[12:13], v[8:9]
	v_fma_f64 v[69:70], v[10:11], v[6:7], v[1:2]
	v_mul_f64 v[1:2], v[10:11], v[8:9]
	v_add_f64 v[90:91], v[65:66], -v[69:70]
	v_fma_f64 v[71:72], v[12:13], v[6:7], -v[1:2]
	ds_read_b128 v[6:9], v62 offset:2496
	ds_read_b128 v[1:4], v62
	s_waitcnt lgkmcnt(1)
	v_mul_f64 v[10:11], v[8:9], v[20:21]
	v_mul_f64 v[112:113], v[90:91], s[34:35]
	v_add_f64 v[92:93], v[67:68], -v[71:72]
	v_mul_f64 v[136:137], v[90:91], s[44:45]
	v_mul_f64 v[160:161], v[90:91], s[28:29]
	v_fma_f64 v[73:74], v[6:7], v[18:19], v[10:11]
	v_mul_f64 v[6:7], v[6:7], v[20:21]
	v_add_f64 v[20:21], v[36:37], v[30:31]
	v_mul_f64 v[116:117], v[92:93], s[34:35]
	v_mul_f64 v[140:141], v[92:93], s[44:45]
	;; [unrolled: 1-line block ×3, first 2 shown]
	v_fma_f64 v[75:76], v[8:9], v[18:19], -v[6:7]
	ds_read_b128 v[6:9], v62 offset:29952
	s_waitcnt vmcnt(0) lgkmcnt(0)
	v_mul_f64 v[10:11], v[8:9], v[16:17]
	v_fma_f64 v[77:78], v[6:7], v[14:15], v[10:11]
	v_mul_f64 v[6:7], v[6:7], v[16:17]
	v_mad_u64_u32 v[10:11], null, s0, v61, 0
	s_mul_i32 s0, s0, s51
	v_add_f64 v[17:18], v[54:55], -v[58:59]
	v_add_f64 v[94:95], v[73:74], -v[77:78]
	v_fma_f64 v[79:80], v[8:9], v[14:15], -v[6:7]
	v_mov_b32_e32 v6, v11
	v_add_f64 v[8:9], v[1:2], v[73:74]
	v_add_f64 v[96:97], v[73:74], v[77:78]
	v_add_f64 v[15:16], v[48:49], -v[52:53]
	v_mad_u64_u32 v[6:7], null, s1, v61, v[6:7]
	s_mul_i32 s1, s1, s51
	v_mul_f64 v[60:61], v[17:18], s[42:43]
	s_add_i32 s1, s7, s1
	s_mul_hi_u32 s7, s8, s33
	s_lshl_b64 s[0:1], s[0:1], 4
	s_add_i32 s9, s7, s9
	v_mov_b32_e32 v11, v6
	v_add_f64 v[6:7], v[3:4], v[75:76]
	s_add_u32 s4, s4, s0
	s_addc_u32 s5, s5, s1
	s_lshl_b64 s[0:1], s[2:3], 4
	s_mul_i32 s8, s8, s33
	v_lshlrev_b64 v[10:11], 4, v[10:11]
	v_mul_f64 v[102:103], v[94:95], s[48:49]
	v_add_f64 v[98:99], v[75:76], v[79:80]
	s_add_u32 s2, s4, s0
	v_add_f64 v[8:9], v[8:9], v[65:66]
	s_addc_u32 s3, s5, s1
	s_lshl_b64 s[0:1], s[8:9], 4
	v_add_f64 v[100:101], v[75:76], -v[79:80]
	s_add_u32 s0, s2, s0
	s_addc_u32 s1, s3, s1
	v_add_co_u32 v84, vcc_lo, s0, v10
	v_add_co_ci_u32_e32 v85, vcc_lo, s1, v11, vcc_lo
	v_lshlrev_b64 v[10:11], 4, v[28:29]
	v_mul_f64 v[106:107], v[94:95], s[38:39]
	s_mul_i32 s0, s6, 13
	v_add_f64 v[6:7], v[6:7], v[67:68]
	v_add_nc_u32_e32 v28, s0, v28
	v_mul_f64 v[74:75], v[82:83], s[34:35]
	v_add_co_u32 v10, vcc_lo, v84, v10
	v_add_co_ci_u32_e32 v11, vcc_lo, v85, v11, vcc_lo
	v_add_f64 v[8:9], v[8:9], v[54:55]
	v_mul_f64 v[104:105], v[100:101], s[48:49]
	v_mul_f64 v[108:109], v[100:101], s[38:39]
	;; [unrolled: 1-line block ×6, first 2 shown]
	v_add_f64 v[6:7], v[6:7], v[56:57]
	v_add_f64 v[8:9], v[8:9], v[46:47]
	;; [unrolled: 1-line block ×19, first 2 shown]
	v_add_f64 v[13:14], v[46:47], -v[50:51]
	v_mul_f64 v[80:81], v[90:91], s[24:25]
	v_mul_f64 v[76:77], v[92:93], s[24:25]
	;; [unrolled: 1-line block ×3, first 2 shown]
	global_store_dwordx4 v[10:11], v[6:9], off
	v_add_f64 v[5:6], v[36:37], -v[30:31]
	v_add_f64 v[9:10], v[34:35], -v[42:43]
	;; [unrolled: 1-line block ×3, first 2 shown]
	v_add_f64 v[30:31], v[46:47], v[50:51]
	v_add_f64 v[40:41], v[67:68], v[71:72]
	v_fma_f64 v[42:43], v[98:99], s[10:11], -v[102:103]
	v_mul_f64 v[46:47], v[90:91], s[38:39]
	v_add_f64 v[7:8], v[38:39], -v[32:33]
	v_add_f64 v[34:35], v[54:55], v[58:59]
	v_add_f64 v[38:39], v[65:66], v[69:70]
	v_mul_f64 v[58:59], v[92:93], s[38:39]
	v_add_f64 v[32:33], v[48:49], v[52:53]
	v_add_f64 v[36:37], v[56:57], v[63:64]
	v_mul_f64 v[56:57], v[82:83], s[42:43]
	v_mul_f64 v[54:55], v[13:14], s[24:25]
	;; [unrolled: 1-line block ×11, first 2 shown]
	v_add_f64 v[42:43], v[3:4], v[42:43]
	v_fma_f64 v[44:45], v[40:41], s[22:23], -v[46:47]
	v_mul_f64 v[134:135], v[7:8], s[26:27]
	v_mul_f64 v[158:159], v[7:8], s[30:31]
	v_fma_f64 v[118:119], v[38:39], s[12:13], v[116:117]
	v_fma_f64 v[48:49], v[38:39], s[22:23], v[58:59]
	;; [unrolled: 1-line block ×4, first 2 shown]
	v_mul_f64 v[182:183], v[7:8], s[24:25]
	v_add_f64 v[42:43], v[44:45], v[42:43]
	v_fma_f64 v[44:45], v[96:97], s[10:11], v[104:105]
	v_add_f64 v[44:45], v[1:2], v[44:45]
	v_add_f64 v[44:45], v[48:49], v[44:45]
	v_fma_f64 v[48:49], v[36:37], s[14:15], -v[60:61]
	v_add_f64 v[42:43], v[48:49], v[42:43]
	v_fma_f64 v[48:49], v[34:35], s[14:15], v[56:57]
	v_add_f64 v[44:45], v[48:49], v[44:45]
	v_fma_f64 v[48:49], v[32:33], s[20:21], -v[54:55]
	v_add_f64 v[42:43], v[48:49], v[42:43]
	v_fma_f64 v[48:49], v[30:31], s[20:21], v[52:53]
	v_add_f64 v[44:45], v[48:49], v[44:45]
	v_fma_f64 v[48:49], v[26:27], s[18:19], -v[50:51]
	v_add_f64 v[42:43], v[48:49], v[42:43]
	v_mul_f64 v[48:49], v[11:12], s[26:27]
	v_fma_f64 v[62:63], v[24:25], s[18:19], v[48:49]
	v_add_f64 v[62:63], v[62:63], v[44:45]
	v_mul_f64 v[44:45], v[5:6], s[34:35]
	v_fma_f64 v[64:65], v[22:23], s[12:13], -v[44:45]
	v_add_f64 v[64:65], v[64:65], v[42:43]
	v_mul_f64 v[42:43], v[7:8], s[34:35]
	v_fma_f64 v[66:67], v[20:21], s[12:13], v[42:43]
	v_add_f64 v[62:63], v[66:67], v[62:63]
	v_lshlrev_b64 v[66:67], 4, v[28:29]
	v_add_nc_u32_e32 v28, s0, v28
	v_add_co_u32 v66, vcc_lo, v84, v66
	v_add_co_ci_u32_e32 v67, vcc_lo, v85, v67, vcc_lo
	global_store_dwordx4 v[66:67], v[62:65], off
	v_fma_f64 v[62:63], v[98:99], s[22:23], -v[106:107]
	v_fma_f64 v[64:65], v[40:41], s[20:21], -v[80:81]
	v_fma_f64 v[66:67], v[38:39], s[20:21], v[76:77]
	v_fma_f64 v[106:107], v[98:99], s[22:23], v[106:107]
	;; [unrolled: 1-line block ×3, first 2 shown]
	v_add_f64 v[62:63], v[3:4], v[62:63]
	v_add_f64 v[106:107], v[3:4], v[106:107]
	;; [unrolled: 1-line block ×3, first 2 shown]
	v_fma_f64 v[64:65], v[96:97], s[22:23], v[108:109]
	v_fma_f64 v[108:109], v[96:97], s[22:23], -v[108:109]
	v_add_f64 v[64:65], v[1:2], v[64:65]
	v_add_f64 v[108:109], v[1:2], v[108:109]
	;; [unrolled: 1-line block ×3, first 2 shown]
	v_fma_f64 v[66:67], v[36:37], s[12:13], -v[78:79]
	v_add_f64 v[62:63], v[66:67], v[62:63]
	v_fma_f64 v[66:67], v[34:35], s[12:13], v[74:75]
	v_fma_f64 v[74:75], v[34:35], s[12:13], -v[74:75]
	v_add_f64 v[64:65], v[66:67], v[64:65]
	v_fma_f64 v[66:67], v[32:33], s[18:19], -v[72:73]
	v_add_f64 v[62:63], v[66:67], v[62:63]
	v_fma_f64 v[66:67], v[30:31], s[18:19], v[70:71]
	v_add_f64 v[64:65], v[66:67], v[64:65]
	v_fma_f64 v[66:67], v[26:27], s[14:15], -v[68:69]
	v_add_f64 v[62:63], v[66:67], v[62:63]
	v_mul_f64 v[66:67], v[11:12], s[28:29]
	v_fma_f64 v[86:87], v[24:25], s[14:15], v[66:67]
	v_add_f64 v[86:87], v[86:87], v[64:65]
	v_mul_f64 v[64:65], v[5:6], s[36:37]
	v_fma_f64 v[88:89], v[22:23], s[10:11], -v[64:65]
	v_add_f64 v[88:89], v[88:89], v[62:63]
	v_mul_f64 v[62:63], v[7:8], s[36:37]
	v_fma_f64 v[110:111], v[20:21], s[10:11], v[62:63]
	v_add_f64 v[86:87], v[110:111], v[86:87]
	v_lshlrev_b64 v[110:111], 4, v[28:29]
	v_add_nc_u32_e32 v28, s0, v28
	v_add_co_u32 v110, vcc_lo, v84, v110
	v_add_co_ci_u32_e32 v111, vcc_lo, v85, v111, vcc_lo
	global_store_dwordx4 v[110:111], v[86:89], off
	v_mul_f64 v[110:111], v[94:95], s[42:43]
	v_fma_f64 v[88:89], v[40:41], s[12:13], -v[112:113]
	v_fma_f64 v[86:87], v[98:99], s[14:15], -v[110:111]
	v_fma_f64 v[110:111], v[98:99], s[14:15], v[110:111]
	v_add_f64 v[86:87], v[3:4], v[86:87]
	v_add_f64 v[110:111], v[3:4], v[110:111]
	;; [unrolled: 1-line block ×3, first 2 shown]
	v_fma_f64 v[88:89], v[96:97], s[14:15], v[114:115]
	v_fma_f64 v[114:115], v[96:97], s[14:15], -v[114:115]
	v_add_f64 v[88:89], v[1:2], v[88:89]
	v_add_f64 v[114:115], v[1:2], v[114:115]
	;; [unrolled: 1-line block ×3, first 2 shown]
	v_mul_f64 v[118:119], v[17:18], s[46:47]
	v_fma_f64 v[120:121], v[36:37], s[20:21], -v[118:119]
	v_add_f64 v[86:87], v[120:121], v[86:87]
	v_mul_f64 v[120:121], v[82:83], s[46:47]
	v_fma_f64 v[122:123], v[34:35], s[20:21], v[120:121]
	v_add_f64 v[88:89], v[122:123], v[88:89]
	v_mul_f64 v[122:123], v[13:14], s[36:37]
	v_fma_f64 v[124:125], v[32:33], s[10:11], -v[122:123]
	v_add_f64 v[86:87], v[124:125], v[86:87]
	v_mul_f64 v[124:125], v[15:16], s[36:37]
	v_fma_f64 v[126:127], v[30:31], s[10:11], v[124:125]
	v_add_f64 v[88:89], v[126:127], v[88:89]
	;; [unrolled: 6-line block ×3, first 2 shown]
	v_fma_f64 v[88:89], v[22:23], s[18:19], -v[132:133]
	v_add_f64 v[88:89], v[88:89], v[86:87]
	v_fma_f64 v[86:87], v[20:21], s[18:19], v[134:135]
	v_add_f64 v[86:87], v[86:87], v[130:131]
	v_lshlrev_b64 v[130:131], 4, v[28:29]
	v_add_nc_u32_e32 v28, s0, v28
	v_add_co_u32 v130, vcc_lo, v84, v130
	v_add_co_ci_u32_e32 v131, vcc_lo, v85, v131, vcc_lo
	global_store_dwordx4 v[130:131], v[86:89], off
	v_mul_f64 v[130:131], v[94:95], s[24:25]
	v_fma_f64 v[88:89], v[40:41], s[18:19], -v[136:137]
	v_fma_f64 v[86:87], v[98:99], s[20:21], -v[130:131]
	v_fma_f64 v[130:131], v[98:99], s[20:21], v[130:131]
	v_add_f64 v[86:87], v[3:4], v[86:87]
	v_add_f64 v[130:131], v[3:4], v[130:131]
	v_add_f64 v[86:87], v[88:89], v[86:87]
	v_fma_f64 v[88:89], v[96:97], s[20:21], v[138:139]
	v_fma_f64 v[138:139], v[96:97], s[20:21], -v[138:139]
	v_add_f64 v[88:89], v[1:2], v[88:89]
	v_add_f64 v[138:139], v[1:2], v[138:139]
	;; [unrolled: 1-line block ×3, first 2 shown]
	v_mul_f64 v[142:143], v[17:18], s[36:37]
	v_fma_f64 v[144:145], v[36:37], s[10:11], -v[142:143]
	v_add_f64 v[86:87], v[144:145], v[86:87]
	v_mul_f64 v[144:145], v[82:83], s[36:37]
	v_fma_f64 v[146:147], v[34:35], s[10:11], v[144:145]
	v_add_f64 v[88:89], v[146:147], v[88:89]
	v_mul_f64 v[146:147], v[13:14], s[42:43]
	v_fma_f64 v[148:149], v[32:33], s[14:15], -v[146:147]
	v_add_f64 v[86:87], v[148:149], v[86:87]
	v_mul_f64 v[148:149], v[15:16], s[42:43]
	v_fma_f64 v[150:151], v[30:31], s[14:15], v[148:149]
	v_add_f64 v[88:89], v[150:151], v[88:89]
	;; [unrolled: 6-line block ×3, first 2 shown]
	v_fma_f64 v[88:89], v[22:23], s[22:23], -v[156:157]
	v_add_f64 v[88:89], v[88:89], v[86:87]
	v_fma_f64 v[86:87], v[20:21], s[22:23], v[158:159]
	v_add_f64 v[86:87], v[86:87], v[154:155]
	v_lshlrev_b64 v[154:155], 4, v[28:29]
	v_add_nc_u32_e32 v28, s0, v28
	v_add_co_u32 v154, vcc_lo, v84, v154
	v_add_co_ci_u32_e32 v155, vcc_lo, v85, v155, vcc_lo
	global_store_dwordx4 v[154:155], v[86:89], off
	v_mul_f64 v[154:155], v[94:95], s[26:27]
	v_fma_f64 v[88:89], v[40:41], s[14:15], -v[160:161]
	v_fma_f64 v[86:87], v[98:99], s[18:19], -v[154:155]
	v_add_f64 v[86:87], v[3:4], v[86:87]
	v_add_f64 v[86:87], v[88:89], v[86:87]
	v_fma_f64 v[88:89], v[96:97], s[18:19], v[162:163]
	v_add_f64 v[88:89], v[1:2], v[88:89]
	v_add_f64 v[88:89], v[166:167], v[88:89]
	v_mul_f64 v[166:167], v[17:18], s[38:39]
	v_mul_f64 v[17:18], v[17:18], s[26:27]
	v_fma_f64 v[168:169], v[36:37], s[22:23], -v[166:167]
	v_add_f64 v[86:87], v[168:169], v[86:87]
	v_mul_f64 v[168:169], v[82:83], s[38:39]
	v_mul_f64 v[82:83], v[82:83], s[26:27]
	v_fma_f64 v[170:171], v[34:35], s[22:23], v[168:169]
	v_add_f64 v[88:89], v[170:171], v[88:89]
	v_mul_f64 v[170:171], v[13:14], s[40:41]
	v_mul_f64 v[13:14], v[13:14], s[30:31]
	v_fma_f64 v[172:173], v[32:33], s[12:13], -v[170:171]
	v_add_f64 v[86:87], v[172:173], v[86:87]
	v_mul_f64 v[172:173], v[15:16], s[40:41]
	v_mul_f64 v[15:16], v[15:16], s[30:31]
	v_fma_f64 v[174:175], v[30:31], s[12:13], v[172:173]
	;; [unrolled: 8-line block ×3, first 2 shown]
	v_add_f64 v[178:179], v[178:179], v[88:89]
	v_fma_f64 v[88:89], v[22:23], s[20:21], -v[180:181]
	v_add_f64 v[88:89], v[88:89], v[86:87]
	v_fma_f64 v[86:87], v[20:21], s[20:21], v[182:183]
	v_add_f64 v[86:87], v[86:87], v[178:179]
	v_lshlrev_b64 v[178:179], 4, v[28:29]
	v_add_nc_u32_e32 v28, s0, v28
	v_add_co_u32 v178, vcc_lo, v84, v178
	v_add_co_ci_u32_e32 v179, vcc_lo, v85, v179, vcc_lo
	global_store_dwordx4 v[178:179], v[86:89], off
	v_mul_f64 v[86:87], v[94:95], s[34:35]
	v_fma_f64 v[94:95], v[98:99], s[18:19], v[154:155]
	v_fma_f64 v[154:155], v[96:97], s[18:19], -v[162:163]
	v_fma_f64 v[88:89], v[98:99], s[12:13], -v[86:87]
	v_fma_f64 v[86:87], v[98:99], s[12:13], v[86:87]
	v_fma_f64 v[98:99], v[98:99], s[10:11], v[102:103]
	;; [unrolled: 1-line block ×3, first 2 shown]
	v_fma_f64 v[100:101], v[96:97], s[12:13], -v[100:101]
	v_fma_f64 v[96:97], v[96:97], s[10:11], -v[104:105]
	v_add_f64 v[104:105], v[1:2], v[154:155]
	v_add_f64 v[94:95], v[3:4], v[94:95]
	;; [unrolled: 1-line block ×8, first 2 shown]
	v_fma_f64 v[0:1], v[40:41], s[10:11], -v[90:91]
	v_fma_f64 v[90:91], v[40:41], s[10:11], v[90:91]
	v_mul_f64 v[4:5], v[5:6], s[28:29]
	v_mul_f64 v[6:7], v[7:8], s[28:29]
	v_add_f64 v[0:1], v[0:1], v[88:89]
	v_mul_f64 v[88:89], v[92:93], s[36:37]
	v_fma_f64 v[92:93], v[36:37], s[18:19], -v[17:18]
	v_add_f64 v[86:87], v[90:91], v[86:87]
	v_fma_f64 v[17:18], v[36:37], s[18:19], v[17:18]
	v_fma_f64 v[2:3], v[38:39], s[10:11], v[88:89]
	v_add_f64 v[0:1], v[92:93], v[0:1]
	v_fma_f64 v[92:93], v[34:35], s[18:19], v[82:83]
	v_fma_f64 v[88:89], v[38:39], s[10:11], -v[88:89]
	v_add_f64 v[17:18], v[17:18], v[86:87]
	v_fma_f64 v[82:83], v[34:35], s[18:19], -v[82:83]
	v_fma_f64 v[86:87], v[20:21], s[18:19], -v[134:135]
	v_add_f64 v[2:3], v[2:3], v[102:103]
	v_add_f64 v[88:89], v[88:89], v[100:101]
	;; [unrolled: 1-line block ×3, first 2 shown]
	v_fma_f64 v[92:93], v[32:33], s[22:23], -v[13:14]
	v_fma_f64 v[13:14], v[32:33], s[22:23], v[13:14]
	v_add_f64 v[82:83], v[82:83], v[88:89]
	v_add_f64 v[0:1], v[92:93], v[0:1]
	v_fma_f64 v[92:93], v[30:31], s[22:23], v[15:16]
	v_add_f64 v[13:14], v[13:14], v[17:18]
	v_fma_f64 v[15:16], v[30:31], s[22:23], -v[15:16]
	v_fma_f64 v[18:19], v[20:21], s[22:23], -v[158:159]
	v_add_f64 v[2:3], v[92:93], v[2:3]
	v_fma_f64 v[92:93], v[26:27], s[20:21], -v[9:10]
	v_fma_f64 v[8:9], v[26:27], s[20:21], v[9:10]
	v_add_f64 v[15:16], v[15:16], v[82:83]
	v_fma_f64 v[82:83], v[36:37], s[20:21], v[118:119]
	v_add_f64 v[0:1], v[92:93], v[0:1]
	;; [unrolled: 2-line block ×3, first 2 shown]
	v_fma_f64 v[10:11], v[24:25], s[20:21], -v[11:12]
	v_fma_f64 v[12:13], v[20:21], s[14:15], -v[6:7]
	v_add_f64 v[92:93], v[92:93], v[2:3]
	v_fma_f64 v[2:3], v[22:23], s[14:15], -v[4:5]
	v_fma_f64 v[4:5], v[22:23], s[14:15], v[4:5]
	v_add_f64 v[10:11], v[10:11], v[15:16]
	v_fma_f64 v[14:15], v[20:21], s[20:21], -v[182:183]
	v_fma_f64 v[16:17], v[36:37], s[10:11], v[142:143]
	v_add_f64 v[2:3], v[2:3], v[0:1]
	v_fma_f64 v[0:1], v[20:21], s[14:15], v[6:7]
	v_add_f64 v[6:7], v[4:5], v[8:9]
	;; [unrolled: 2-line block ×3, first 2 shown]
	v_fma_f64 v[10:11], v[38:39], s[14:15], -v[164:165]
	v_fma_f64 v[12:13], v[36:37], s[22:23], v[166:167]
	v_add_f64 v[0:1], v[0:1], v[92:93]
	v_add_f64 v[8:9], v[8:9], v[94:95]
	;; [unrolled: 1-line block ×4, first 2 shown]
	v_fma_f64 v[12:13], v[34:35], s[22:23], -v[168:169]
	v_add_f64 v[10:11], v[12:13], v[10:11]
	v_fma_f64 v[12:13], v[32:33], s[12:13], v[170:171]
	v_add_f64 v[8:9], v[12:13], v[8:9]
	v_fma_f64 v[12:13], v[30:31], s[12:13], -v[172:173]
	v_add_f64 v[10:11], v[12:13], v[10:11]
	v_fma_f64 v[12:13], v[26:27], s[10:11], v[174:175]
	v_add_f64 v[8:9], v[12:13], v[8:9]
	;; [unrolled: 4-line block ×3, first 2 shown]
	v_add_f64 v[8:9], v[14:15], v[12:13]
	v_fma_f64 v[12:13], v[40:41], s[18:19], v[136:137]
	v_fma_f64 v[14:15], v[38:39], s[18:19], -v[140:141]
	v_add_f64 v[12:13], v[12:13], v[130:131]
	v_add_f64 v[14:15], v[14:15], v[138:139]
	;; [unrolled: 1-line block ×3, first 2 shown]
	v_fma_f64 v[16:17], v[34:35], s[10:11], -v[144:145]
	v_add_f64 v[14:15], v[16:17], v[14:15]
	v_fma_f64 v[16:17], v[32:33], s[14:15], v[146:147]
	v_add_f64 v[12:13], v[16:17], v[12:13]
	v_fma_f64 v[16:17], v[30:31], s[14:15], -v[148:149]
	v_add_f64 v[14:15], v[16:17], v[14:15]
	v_fma_f64 v[16:17], v[26:27], s[12:13], v[150:151]
	v_add_f64 v[12:13], v[16:17], v[12:13]
	;; [unrolled: 4-line block ×3, first 2 shown]
	v_add_f64 v[12:13], v[18:19], v[16:17]
	v_fma_f64 v[16:17], v[40:41], s[12:13], v[112:113]
	v_fma_f64 v[18:19], v[38:39], s[12:13], -v[116:117]
	v_fma_f64 v[40:41], v[40:41], s[22:23], v[46:47]
	v_fma_f64 v[46:47], v[38:39], s[20:21], -v[76:77]
	v_fma_f64 v[38:39], v[38:39], s[22:23], -v[58:59]
	v_fma_f64 v[58:59], v[36:37], s[12:13], v[78:79]
	v_fma_f64 v[36:37], v[36:37], s[14:15], v[60:61]
	v_add_f64 v[60:61], v[80:81], v[106:107]
	v_add_f64 v[16:17], v[16:17], v[110:111]
	;; [unrolled: 1-line block ×7, first 2 shown]
	v_fma_f64 v[82:83], v[34:35], s[20:21], -v[120:121]
	v_fma_f64 v[34:35], v[34:35], s[14:15], -v[56:57]
	v_fma_f64 v[56:57], v[32:33], s[18:19], v[72:73]
	v_add_f64 v[46:47], v[74:75], v[46:47]
	v_add_f64 v[36:37], v[36:37], v[40:41]
	;; [unrolled: 1-line block ×3, first 2 shown]
	v_fma_f64 v[82:83], v[32:33], s[10:11], v[122:123]
	v_fma_f64 v[32:33], v[32:33], s[20:21], v[54:55]
	v_add_f64 v[54:55], v[58:59], v[60:61]
	v_fma_f64 v[58:59], v[30:31], s[18:19], -v[70:71]
	v_add_f64 v[34:35], v[34:35], v[38:39]
	v_fma_f64 v[38:39], v[26:27], s[14:15], v[68:69]
	v_add_f64 v[16:17], v[82:83], v[16:17]
	v_fma_f64 v[82:83], v[30:31], s[10:11], -v[124:125]
	v_fma_f64 v[30:31], v[30:31], s[20:21], -v[52:53]
	v_add_f64 v[40:41], v[56:57], v[54:55]
	v_add_f64 v[46:47], v[58:59], v[46:47]
	;; [unrolled: 1-line block ×3, first 2 shown]
	v_fma_f64 v[36:37], v[22:23], s[10:11], v[64:65]
	v_add_f64 v[18:19], v[82:83], v[18:19]
	v_fma_f64 v[82:83], v[26:27], s[22:23], v[126:127]
	v_fma_f64 v[26:27], v[26:27], s[18:19], v[50:51]
	v_fma_f64 v[50:51], v[24:25], s[14:15], -v[66:67]
	v_add_f64 v[34:35], v[30:31], v[34:35]
	v_add_f64 v[38:39], v[38:39], v[40:41]
	v_lshlrev_b64 v[30:31], 4, v[28:29]
	v_add_nc_u32_e32 v28, s0, v28
	v_add_co_u32 v30, vcc_lo, v84, v30
	v_add_co_ci_u32_e32 v31, vcc_lo, v85, v31, vcc_lo
	v_add_f64 v[16:17], v[82:83], v[16:17]
	v_fma_f64 v[82:83], v[24:25], s[22:23], -v[128:129]
	v_fma_f64 v[24:25], v[24:25], s[18:19], -v[48:49]
	v_add_f64 v[40:41], v[50:51], v[46:47]
	v_add_f64 v[82:83], v[82:83], v[18:19]
	v_fma_f64 v[18:19], v[22:23], s[18:19], v[132:133]
	v_fma_f64 v[22:23], v[22:23], s[12:13], v[44:45]
	v_fma_f64 v[44:45], v[20:21], s[10:11], -v[62:63]
	v_fma_f64 v[20:21], v[20:21], s[12:13], -v[42:43]
	v_add_f64 v[42:43], v[26:27], v[32:33]
	v_add_f64 v[46:47], v[24:25], v[34:35]
	v_lshlrev_b64 v[32:33], 4, v[28:29]
	v_add_nc_u32_e32 v28, s0, v28
	v_add_f64 v[26:27], v[36:37], v[38:39]
	v_lshlrev_b64 v[34:35], 4, v[28:29]
	v_add_nc_u32_e32 v28, s0, v28
	v_add_co_u32 v32, vcc_lo, v84, v32
	v_add_co_ci_u32_e32 v33, vcc_lo, v85, v33, vcc_lo
	v_lshlrev_b64 v[36:37], 4, v[28:29]
	v_add_nc_u32_e32 v28, s0, v28
	v_add_co_u32 v34, vcc_lo, v84, v34
	v_add_f64 v[18:19], v[18:19], v[16:17]
	v_add_f64 v[16:17], v[86:87], v[82:83]
	v_lshlrev_b64 v[38:39], 4, v[28:29]
	v_add_nc_u32_e32 v28, s0, v28
	v_add_f64 v[24:25], v[44:45], v[40:41]
	v_add_f64 v[22:23], v[22:23], v[42:43]
	;; [unrolled: 1-line block ×3, first 2 shown]
	v_add_co_ci_u32_e32 v35, vcc_lo, v85, v35, vcc_lo
	v_lshlrev_b64 v[40:41], 4, v[28:29]
	v_add_nc_u32_e32 v28, s0, v28
	v_add_co_u32 v36, vcc_lo, v84, v36
	v_add_co_ci_u32_e32 v37, vcc_lo, v85, v37, vcc_lo
	v_add_co_u32 v38, vcc_lo, v84, v38
	v_lshlrev_b64 v[28:29], 4, v[28:29]
	v_add_co_ci_u32_e32 v39, vcc_lo, v85, v39, vcc_lo
	v_add_co_u32 v40, vcc_lo, v84, v40
	v_add_co_ci_u32_e32 v41, vcc_lo, v85, v41, vcc_lo
	v_add_co_u32 v28, vcc_lo, v84, v28
	v_add_co_ci_u32_e32 v29, vcc_lo, v85, v29, vcc_lo
	global_store_dwordx4 v[30:31], v[0:3], off
	global_store_dwordx4 v[32:33], v[4:7], off
	;; [unrolled: 1-line block ×7, first 2 shown]
.LBB0_8:
	s_endpgm
	.section	.rodata,"a",@progbits
	.p2align	6, 0x0
	.amdhsa_kernel fft_rtc_back_len169_factors_13_13_wgs_156_tpt_13_dp_op_CI_CI_sbrc_z_xy_unaligned_dirReg
		.amdhsa_group_segment_fixed_size 0
		.amdhsa_private_segment_fixed_size 0
		.amdhsa_kernarg_size 104
		.amdhsa_user_sgpr_count 6
		.amdhsa_user_sgpr_private_segment_buffer 1
		.amdhsa_user_sgpr_dispatch_ptr 0
		.amdhsa_user_sgpr_queue_ptr 0
		.amdhsa_user_sgpr_kernarg_segment_ptr 1
		.amdhsa_user_sgpr_dispatch_id 0
		.amdhsa_user_sgpr_flat_scratch_init 0
		.amdhsa_user_sgpr_private_segment_size 0
		.amdhsa_wavefront_size32 1
		.amdhsa_uses_dynamic_stack 0
		.amdhsa_system_sgpr_private_segment_wavefront_offset 0
		.amdhsa_system_sgpr_workgroup_id_x 1
		.amdhsa_system_sgpr_workgroup_id_y 0
		.amdhsa_system_sgpr_workgroup_id_z 0
		.amdhsa_system_sgpr_workgroup_info 0
		.amdhsa_system_vgpr_workitem_id 0
		.amdhsa_next_free_vgpr 192
		.amdhsa_next_free_sgpr 52
		.amdhsa_reserve_vcc 1
		.amdhsa_reserve_flat_scratch 0
		.amdhsa_float_round_mode_32 0
		.amdhsa_float_round_mode_16_64 0
		.amdhsa_float_denorm_mode_32 3
		.amdhsa_float_denorm_mode_16_64 3
		.amdhsa_dx10_clamp 1
		.amdhsa_ieee_mode 1
		.amdhsa_fp16_overflow 0
		.amdhsa_workgroup_processor_mode 1
		.amdhsa_memory_ordered 1
		.amdhsa_forward_progress 0
		.amdhsa_shared_vgpr_count 0
		.amdhsa_exception_fp_ieee_invalid_op 0
		.amdhsa_exception_fp_denorm_src 0
		.amdhsa_exception_fp_ieee_div_zero 0
		.amdhsa_exception_fp_ieee_overflow 0
		.amdhsa_exception_fp_ieee_underflow 0
		.amdhsa_exception_fp_ieee_inexact 0
		.amdhsa_exception_int_div_zero 0
	.end_amdhsa_kernel
	.text
.Lfunc_end0:
	.size	fft_rtc_back_len169_factors_13_13_wgs_156_tpt_13_dp_op_CI_CI_sbrc_z_xy_unaligned_dirReg, .Lfunc_end0-fft_rtc_back_len169_factors_13_13_wgs_156_tpt_13_dp_op_CI_CI_sbrc_z_xy_unaligned_dirReg
                                        ; -- End function
	.section	.AMDGPU.csdata,"",@progbits
; Kernel info:
; codeLenInByte = 11308
; NumSgprs: 54
; NumVgprs: 192
; ScratchSize: 0
; MemoryBound: 0
; FloatMode: 240
; IeeeMode: 1
; LDSByteSize: 0 bytes/workgroup (compile time only)
; SGPRBlocks: 6
; VGPRBlocks: 23
; NumSGPRsForWavesPerEU: 54
; NumVGPRsForWavesPerEU: 192
; Occupancy: 5
; WaveLimiterHint : 1
; COMPUTE_PGM_RSRC2:SCRATCH_EN: 0
; COMPUTE_PGM_RSRC2:USER_SGPR: 6
; COMPUTE_PGM_RSRC2:TRAP_HANDLER: 0
; COMPUTE_PGM_RSRC2:TGID_X_EN: 1
; COMPUTE_PGM_RSRC2:TGID_Y_EN: 0
; COMPUTE_PGM_RSRC2:TGID_Z_EN: 0
; COMPUTE_PGM_RSRC2:TIDIG_COMP_CNT: 0
	.text
	.p2alignl 6, 3214868480
	.fill 48, 4, 3214868480
	.type	__hip_cuid_996ae337067f5007,@object ; @__hip_cuid_996ae337067f5007
	.section	.bss,"aw",@nobits
	.globl	__hip_cuid_996ae337067f5007
__hip_cuid_996ae337067f5007:
	.byte	0                               ; 0x0
	.size	__hip_cuid_996ae337067f5007, 1

	.ident	"AMD clang version 19.0.0git (https://github.com/RadeonOpenCompute/llvm-project roc-6.4.0 25133 c7fe45cf4b819c5991fe208aaa96edf142730f1d)"
	.section	".note.GNU-stack","",@progbits
	.addrsig
	.addrsig_sym __hip_cuid_996ae337067f5007
	.amdgpu_metadata
---
amdhsa.kernels:
  - .args:
      - .actual_access:  read_only
        .address_space:  global
        .offset:         0
        .size:           8
        .value_kind:     global_buffer
      - .offset:         8
        .size:           8
        .value_kind:     by_value
      - .actual_access:  read_only
        .address_space:  global
        .offset:         16
        .size:           8
        .value_kind:     global_buffer
      - .actual_access:  read_only
        .address_space:  global
        .offset:         24
        .size:           8
        .value_kind:     global_buffer
      - .actual_access:  read_only
        .address_space:  global
        .offset:         32
        .size:           8
        .value_kind:     global_buffer
      - .offset:         40
        .size:           8
        .value_kind:     by_value
      - .actual_access:  read_only
        .address_space:  global
        .offset:         48
        .size:           8
        .value_kind:     global_buffer
      - .actual_access:  read_only
        .address_space:  global
        .offset:         56
        .size:           8
        .value_kind:     global_buffer
      - .offset:         64
        .size:           4
        .value_kind:     by_value
      - .actual_access:  read_only
        .address_space:  global
        .offset:         72
        .size:           8
        .value_kind:     global_buffer
      - .actual_access:  read_only
        .address_space:  global
        .offset:         80
        .size:           8
        .value_kind:     global_buffer
      - .actual_access:  read_only
        .address_space:  global
        .offset:         88
        .size:           8
        .value_kind:     global_buffer
      - .actual_access:  write_only
        .address_space:  global
        .offset:         96
        .size:           8
        .value_kind:     global_buffer
    .group_segment_fixed_size: 0
    .kernarg_segment_align: 8
    .kernarg_segment_size: 104
    .language:       OpenCL C
    .language_version:
      - 2
      - 0
    .max_flat_workgroup_size: 156
    .name:           fft_rtc_back_len169_factors_13_13_wgs_156_tpt_13_dp_op_CI_CI_sbrc_z_xy_unaligned_dirReg
    .private_segment_fixed_size: 0
    .sgpr_count:     54
    .sgpr_spill_count: 0
    .symbol:         fft_rtc_back_len169_factors_13_13_wgs_156_tpt_13_dp_op_CI_CI_sbrc_z_xy_unaligned_dirReg.kd
    .uniform_work_group_size: 1
    .uses_dynamic_stack: false
    .vgpr_count:     192
    .vgpr_spill_count: 0
    .wavefront_size: 32
    .workgroup_processor_mode: 1
amdhsa.target:   amdgcn-amd-amdhsa--gfx1030
amdhsa.version:
  - 1
  - 2
...

	.end_amdgpu_metadata
